;; amdgpu-corpus repo=ROCm/rocFFT kind=compiled arch=gfx906 opt=O3
	.text
	.amdgcn_target "amdgcn-amd-amdhsa--gfx906"
	.amdhsa_code_object_version 6
	.protected	fft_rtc_fwd_len224_factors_7_2_2_2_2_2_wgs_64_tpt_16_halfLds_half_op_CI_CI_unitstride_sbrr_R2C_dirReg ; -- Begin function fft_rtc_fwd_len224_factors_7_2_2_2_2_2_wgs_64_tpt_16_halfLds_half_op_CI_CI_unitstride_sbrr_R2C_dirReg
	.globl	fft_rtc_fwd_len224_factors_7_2_2_2_2_2_wgs_64_tpt_16_halfLds_half_op_CI_CI_unitstride_sbrr_R2C_dirReg
	.p2align	8
	.type	fft_rtc_fwd_len224_factors_7_2_2_2_2_2_wgs_64_tpt_16_halfLds_half_op_CI_CI_unitstride_sbrr_R2C_dirReg,@function
fft_rtc_fwd_len224_factors_7_2_2_2_2_2_wgs_64_tpt_16_halfLds_half_op_CI_CI_unitstride_sbrr_R2C_dirReg: ; @fft_rtc_fwd_len224_factors_7_2_2_2_2_2_wgs_64_tpt_16_halfLds_half_op_CI_CI_unitstride_sbrr_R2C_dirReg
; %bb.0:
	s_load_dwordx4 s[8:11], s[4:5], 0x58
	s_load_dwordx4 s[12:15], s[4:5], 0x0
	;; [unrolled: 1-line block ×3, first 2 shown]
	v_lshrrev_b32_e32 v21, 4, v0
	v_mov_b32_e32 v3, 0
	v_mov_b32_e32 v19, 0
	s_waitcnt lgkmcnt(0)
	v_cmp_lt_u64_e64 s[0:1], s[14:15], 2
	v_lshl_or_b32 v7, s6, 2, v21
	v_mov_b32_e32 v8, v3
	s_and_b64 vcc, exec, s[0:1]
	v_mov_b32_e32 v20, 0
	s_cbranch_vccnz .LBB0_8
; %bb.1:
	s_load_dwordx2 s[0:1], s[4:5], 0x10
	s_add_u32 s2, s18, 8
	s_addc_u32 s3, s19, 0
	s_add_u32 s6, s16, 8
	s_addc_u32 s7, s17, 0
	v_mov_b32_e32 v19, 0
	s_waitcnt lgkmcnt(0)
	s_add_u32 s20, s0, 8
	v_mov_b32_e32 v20, 0
	v_mov_b32_e32 v1, v19
	s_addc_u32 s21, s1, 0
	s_mov_b64 s[22:23], 1
	v_mov_b32_e32 v2, v20
.LBB0_2:                                ; =>This Inner Loop Header: Depth=1
	s_load_dwordx2 s[24:25], s[20:21], 0x0
                                        ; implicit-def: $vgpr5_vgpr6
	s_waitcnt lgkmcnt(0)
	v_or_b32_e32 v4, s25, v8
	v_cmp_ne_u64_e32 vcc, 0, v[3:4]
	s_and_saveexec_b64 s[0:1], vcc
	s_xor_b64 s[26:27], exec, s[0:1]
	s_cbranch_execz .LBB0_4
; %bb.3:                                ;   in Loop: Header=BB0_2 Depth=1
	v_cvt_f32_u32_e32 v4, s24
	v_cvt_f32_u32_e32 v5, s25
	s_sub_u32 s0, 0, s24
	s_subb_u32 s1, 0, s25
	v_mac_f32_e32 v4, 0x4f800000, v5
	v_rcp_f32_e32 v4, v4
	v_mul_f32_e32 v4, 0x5f7ffffc, v4
	v_mul_f32_e32 v5, 0x2f800000, v4
	v_trunc_f32_e32 v5, v5
	v_mac_f32_e32 v4, 0xcf800000, v5
	v_cvt_u32_f32_e32 v5, v5
	v_cvt_u32_f32_e32 v4, v4
	v_mul_lo_u32 v6, s0, v5
	v_mul_hi_u32 v9, s0, v4
	v_mul_lo_u32 v11, s1, v4
	v_mul_lo_u32 v10, s0, v4
	v_add_u32_e32 v6, v9, v6
	v_add_u32_e32 v6, v6, v11
	v_mul_hi_u32 v9, v4, v10
	v_mul_lo_u32 v11, v4, v6
	v_mul_hi_u32 v13, v4, v6
	v_mul_hi_u32 v12, v5, v10
	v_mul_lo_u32 v10, v5, v10
	v_mul_hi_u32 v14, v5, v6
	v_add_co_u32_e32 v9, vcc, v9, v11
	v_addc_co_u32_e32 v11, vcc, 0, v13, vcc
	v_mul_lo_u32 v6, v5, v6
	v_add_co_u32_e32 v9, vcc, v9, v10
	v_addc_co_u32_e32 v9, vcc, v11, v12, vcc
	v_addc_co_u32_e32 v10, vcc, 0, v14, vcc
	v_add_co_u32_e32 v6, vcc, v9, v6
	v_addc_co_u32_e32 v9, vcc, 0, v10, vcc
	v_add_co_u32_e32 v4, vcc, v4, v6
	v_addc_co_u32_e32 v5, vcc, v5, v9, vcc
	v_mul_lo_u32 v6, s0, v5
	v_mul_hi_u32 v9, s0, v4
	v_mul_lo_u32 v10, s1, v4
	v_mul_lo_u32 v11, s0, v4
	v_add_u32_e32 v6, v9, v6
	v_add_u32_e32 v6, v6, v10
	v_mul_lo_u32 v12, v4, v6
	v_mul_hi_u32 v13, v4, v11
	v_mul_hi_u32 v14, v4, v6
	v_mul_hi_u32 v10, v5, v11
	v_mul_lo_u32 v11, v5, v11
	v_mul_hi_u32 v9, v5, v6
	v_add_co_u32_e32 v12, vcc, v13, v12
	v_addc_co_u32_e32 v13, vcc, 0, v14, vcc
	v_mul_lo_u32 v6, v5, v6
	v_add_co_u32_e32 v11, vcc, v12, v11
	v_addc_co_u32_e32 v10, vcc, v13, v10, vcc
	v_addc_co_u32_e32 v9, vcc, 0, v9, vcc
	v_add_co_u32_e32 v6, vcc, v10, v6
	v_addc_co_u32_e32 v9, vcc, 0, v9, vcc
	v_add_co_u32_e32 v6, vcc, v4, v6
	v_addc_co_u32_e32 v9, vcc, v5, v9, vcc
	v_mad_u64_u32 v[4:5], s[0:1], v7, v9, 0
	v_mul_hi_u32 v10, v7, v6
	v_add_co_u32_e32 v11, vcc, v10, v4
	v_addc_co_u32_e32 v12, vcc, 0, v5, vcc
	v_mad_u64_u32 v[4:5], s[0:1], v8, v6, 0
	v_mad_u64_u32 v[9:10], s[0:1], v8, v9, 0
	v_add_co_u32_e32 v4, vcc, v11, v4
	v_addc_co_u32_e32 v4, vcc, v12, v5, vcc
	v_addc_co_u32_e32 v5, vcc, 0, v10, vcc
	v_add_co_u32_e32 v9, vcc, v4, v9
	v_addc_co_u32_e32 v6, vcc, 0, v5, vcc
	v_mul_lo_u32 v10, s25, v9
	v_mul_lo_u32 v11, s24, v6
	v_mad_u64_u32 v[4:5], s[0:1], s24, v9, 0
	v_add3_u32 v5, v5, v11, v10
	v_sub_u32_e32 v10, v8, v5
	v_mov_b32_e32 v11, s25
	v_sub_co_u32_e32 v4, vcc, v7, v4
	v_subb_co_u32_e64 v10, s[0:1], v10, v11, vcc
	v_subrev_co_u32_e64 v11, s[0:1], s24, v4
	v_subbrev_co_u32_e64 v10, s[0:1], 0, v10, s[0:1]
	v_cmp_le_u32_e64 s[0:1], s25, v10
	v_cndmask_b32_e64 v12, 0, -1, s[0:1]
	v_cmp_le_u32_e64 s[0:1], s24, v11
	v_cndmask_b32_e64 v11, 0, -1, s[0:1]
	v_cmp_eq_u32_e64 s[0:1], s25, v10
	v_cndmask_b32_e64 v10, v12, v11, s[0:1]
	v_add_co_u32_e64 v11, s[0:1], 2, v9
	v_addc_co_u32_e64 v12, s[0:1], 0, v6, s[0:1]
	v_add_co_u32_e64 v13, s[0:1], 1, v9
	v_addc_co_u32_e64 v14, s[0:1], 0, v6, s[0:1]
	v_subb_co_u32_e32 v5, vcc, v8, v5, vcc
	v_cmp_ne_u32_e64 s[0:1], 0, v10
	v_cmp_le_u32_e32 vcc, s25, v5
	v_cndmask_b32_e64 v10, v14, v12, s[0:1]
	v_cndmask_b32_e64 v12, 0, -1, vcc
	v_cmp_le_u32_e32 vcc, s24, v4
	v_cndmask_b32_e64 v4, 0, -1, vcc
	v_cmp_eq_u32_e32 vcc, s25, v5
	v_cndmask_b32_e32 v4, v12, v4, vcc
	v_cmp_ne_u32_e32 vcc, 0, v4
	v_cndmask_b32_e64 v4, v13, v11, s[0:1]
	v_cndmask_b32_e32 v6, v6, v10, vcc
	v_cndmask_b32_e32 v5, v9, v4, vcc
.LBB0_4:                                ;   in Loop: Header=BB0_2 Depth=1
	s_andn2_saveexec_b64 s[0:1], s[26:27]
	s_cbranch_execz .LBB0_6
; %bb.5:                                ;   in Loop: Header=BB0_2 Depth=1
	v_cvt_f32_u32_e32 v4, s24
	s_sub_i32 s26, 0, s24
	v_rcp_iflag_f32_e32 v4, v4
	v_mul_f32_e32 v4, 0x4f7ffffe, v4
	v_cvt_u32_f32_e32 v4, v4
	v_mul_lo_u32 v5, s26, v4
	v_mul_hi_u32 v5, v4, v5
	v_add_u32_e32 v4, v4, v5
	v_mul_hi_u32 v4, v7, v4
	v_mul_lo_u32 v5, v4, s24
	v_add_u32_e32 v6, 1, v4
	v_sub_u32_e32 v5, v7, v5
	v_subrev_u32_e32 v9, s24, v5
	v_cmp_le_u32_e32 vcc, s24, v5
	v_cndmask_b32_e32 v5, v5, v9, vcc
	v_cndmask_b32_e32 v4, v4, v6, vcc
	v_add_u32_e32 v6, 1, v4
	v_cmp_le_u32_e32 vcc, s24, v5
	v_cndmask_b32_e32 v5, v4, v6, vcc
	v_mov_b32_e32 v6, v3
.LBB0_6:                                ;   in Loop: Header=BB0_2 Depth=1
	s_or_b64 exec, exec, s[0:1]
	v_mul_lo_u32 v4, v6, s24
	v_mul_lo_u32 v11, v5, s25
	v_mad_u64_u32 v[9:10], s[0:1], v5, s24, 0
	s_load_dwordx2 s[0:1], s[6:7], 0x0
	s_load_dwordx2 s[24:25], s[2:3], 0x0
	v_add3_u32 v4, v10, v11, v4
	v_sub_co_u32_e32 v7, vcc, v7, v9
	v_subb_co_u32_e32 v4, vcc, v8, v4, vcc
	s_waitcnt lgkmcnt(0)
	v_mul_lo_u32 v8, s0, v4
	v_mul_lo_u32 v9, s1, v7
	v_mad_u64_u32 v[19:20], s[0:1], s0, v7, v[19:20]
	s_add_u32 s22, s22, 1
	s_addc_u32 s23, s23, 0
	s_add_u32 s2, s2, 8
	v_mul_lo_u32 v4, s24, v4
	v_mul_lo_u32 v10, s25, v7
	v_mad_u64_u32 v[1:2], s[0:1], s24, v7, v[1:2]
	v_add3_u32 v20, v9, v20, v8
	s_addc_u32 s3, s3, 0
	v_mov_b32_e32 v7, s14
	s_add_u32 s6, s6, 8
	v_mov_b32_e32 v8, s15
	s_addc_u32 s7, s7, 0
	v_cmp_ge_u64_e32 vcc, s[22:23], v[7:8]
	s_add_u32 s20, s20, 8
	v_add3_u32 v2, v10, v2, v4
	s_addc_u32 s21, s21, 0
	s_cbranch_vccnz .LBB0_9
; %bb.7:                                ;   in Loop: Header=BB0_2 Depth=1
	v_mov_b32_e32 v8, v6
	v_mov_b32_e32 v7, v5
	s_branch .LBB0_2
.LBB0_8:
	v_mov_b32_e32 v1, v19
	v_mov_b32_e32 v5, v7
	;; [unrolled: 1-line block ×4, first 2 shown]
.LBB0_9:
	s_load_dwordx2 s[0:1], s[4:5], 0x28
	s_lshl_b64 s[6:7], s[14:15], 3
	s_add_u32 s2, s18, s6
	s_addc_u32 s3, s19, s7
	v_and_b32_e32 v3, 15, v0
	s_waitcnt lgkmcnt(0)
	v_cmp_gt_u64_e32 vcc, s[0:1], v[5:6]
	v_cmp_le_u64_e64 s[0:1], s[0:1], v[5:6]
                                        ; implicit-def: $vgpr7
                                        ; implicit-def: $vgpr17
                                        ; implicit-def: $vgpr15
                                        ; implicit-def: $vgpr9
                                        ; implicit-def: $vgpr11
                                        ; implicit-def: $vgpr13
	s_and_saveexec_b64 s[4:5], s[0:1]
	s_xor_b64 s[0:1], exec, s[4:5]
	s_cbranch_execz .LBB0_11
; %bb.10:
	v_and_b32_e32 v3, 15, v0
	v_mov_b32_e32 v4, 0
	v_or_b32_e32 v7, 16, v3
	v_or_b32_e32 v17, 32, v3
	;; [unrolled: 1-line block ×6, first 2 shown]
	v_mov_b32_e32 v8, v4
	v_mov_b32_e32 v18, v4
	;; [unrolled: 1-line block ×6, first 2 shown]
                                        ; implicit-def: $vgpr19_vgpr20
.LBB0_11:
	s_or_saveexec_b64 s[4:5], s[0:1]
	v_mul_u32_u24_e32 v0, 0xe1, v21
	v_lshlrev_b32_e32 v28, 2, v0
	s_xor_b64 exec, exec, s[4:5]
	s_cbranch_execz .LBB0_13
; %bb.12:
	s_add_u32 s0, s16, s6
	s_addc_u32 s1, s17, s7
	s_load_dwordx2 s[0:1], s[0:1], 0x0
	v_mov_b32_e32 v11, s9
	v_lshlrev_b64 v[9:10], 2, v[19:20]
	v_or_b32_e32 v17, 32, v3
	v_or_b32_e32 v15, 48, v3
	s_waitcnt lgkmcnt(0)
	v_mul_lo_u32 v0, s1, v5
	v_mul_lo_u32 v4, s0, v6
	v_mad_u64_u32 v[7:8], s[0:1], s0, v5, 0
	v_or_b32_e32 v13, 0x60, v3
	v_add3_u32 v8, v8, v4, v0
	v_lshlrev_b64 v[7:8], 2, v[7:8]
	v_add_co_u32_e64 v0, s[0:1], s8, v7
	v_addc_co_u32_e64 v4, s[0:1], v11, v8, s[0:1]
	v_add_co_u32_e64 v0, s[0:1], v0, v9
	v_addc_co_u32_e64 v4, s[0:1], v4, v10, s[0:1]
	v_lshlrev_b32_e32 v10, 2, v3
	v_add_co_u32_e64 v7, s[0:1], v0, v10
	v_addc_co_u32_e64 v8, s[0:1], 0, v4, s[0:1]
	global_load_dword v0, v[7:8], off
	global_load_dword v19, v[7:8], off offset:64
	global_load_dword v20, v[7:8], off offset:128
	;; [unrolled: 1-line block ×13, first 2 shown]
	v_mov_b32_e32 v4, 0
	v_or_b32_e32 v7, 16, v3
	v_or_b32_e32 v9, 64, v3
	;; [unrolled: 1-line block ×3, first 2 shown]
	v_add3_u32 v33, 0, v28, v10
	v_mov_b32_e32 v8, v4
	v_mov_b32_e32 v18, v4
	;; [unrolled: 1-line block ×6, first 2 shown]
	s_waitcnt vmcnt(12)
	ds_write2_b32 v33, v0, v19 offset1:16
	s_waitcnt vmcnt(10)
	ds_write2_b32 v33, v20, v21 offset0:32 offset1:48
	s_waitcnt vmcnt(8)
	ds_write2_b32 v33, v22, v23 offset0:64 offset1:80
	;; [unrolled: 2-line block ×6, first 2 shown]
.LBB0_13:
	s_or_b64 exec, exec, s[4:5]
	v_lshlrev_b32_e32 v26, 2, v3
	v_add_u32_e32 v0, 0, v28
	v_add3_u32 v27, 0, v26, v28
	s_load_dwordx2 s[2:3], s[2:3], 0x0
	s_waitcnt lgkmcnt(0)
	; wave barrier
	s_waitcnt lgkmcnt(0)
	v_add_u32_e32 v25, v0, v26
	ds_read2_b32 v[20:21], v27 offset0:48 offset1:64
	ds_read2_b32 v[22:23], v27 offset0:80 offset1:96
	;; [unrolled: 1-line block ×3, first 2 shown]
	ds_read_b32 v37, v27 offset:832
	ds_read2_b32 v[31:32], v27 offset0:176 offset1:192
	ds_read2_b32 v[33:34], v27 offset0:144 offset1:160
	;; [unrolled: 1-line block ×3, first 2 shown]
	ds_read_b32 v38, v25
	s_waitcnt lgkmcnt(5)
	v_pk_add_f16 v45, v23, v30
	v_pk_add_f16 v23, v30, v23 neg_lo:[0,1] neg_hi:[0,1]
	s_waitcnt lgkmcnt(2)
	v_pk_add_f16 v44, v21, v34
	s_waitcnt lgkmcnt(1)
	v_pk_add_f16 v43, v36, v32
	v_pk_add_f16 v46, v44, v43
	v_pk_add_f16 v32, v36, v32 neg_lo:[0,1] neg_hi:[0,1]
	v_pk_add_f16 v21, v21, v34 neg_lo:[0,1] neg_hi:[0,1]
	v_pk_add_f16 v46, v45, v46
	v_pk_add_f16 v30, v44, v43 neg_lo:[0,1] neg_hi:[0,1]
	v_pk_add_f16 v34, v43, v45 neg_lo:[0,1] neg_hi:[0,1]
	;; [unrolled: 1-line block ×3, first 2 shown]
	s_movk_i32 s7, 0x3a52
	s_movk_i32 s8, 0x39e0
	s_movk_i32 s9, 0x3b00
	s_waitcnt lgkmcnt(0)
	v_pk_add_f16 v38, v38, v46
	v_pk_add_f16 v36, v23, v21
	v_pk_add_f16 v43, v32, v23 neg_lo:[0,1] neg_hi:[0,1]
	v_pk_mul_f16 v34, v34, s7 op_sel_hi:[1,0]
	v_pk_mul_f16 v30, v30, s8 op_sel_hi:[1,0]
	s_movk_i32 s6, 0x3574
	v_pk_mul_f16 v47, v47, s9 op_sel_hi:[1,0]
	s_movk_i32 s14, 0x3cab
	v_pk_add_f16 v44, v45, v44 neg_lo:[0,1] neg_hi:[0,1]
	v_pk_add_f16 v21, v23, v21 neg_lo:[0,1] neg_hi:[0,1]
	s_movk_i32 s1, 0x2b26
	s_mov_b32 s5, 0xb846
	v_pk_add_f16 v32, v36, v32
	v_pk_mul_f16 v36, v43, s6 op_sel_hi:[1,0]
	v_pk_fma_f16 v46, v46, s14, v38 op_sel_hi:[1,0,1] neg_lo:[1,0,0] neg_hi:[1,0,0]
	v_pk_add_f16 v48, v34, v30 op_sel:[1,1] op_sel_hi:[0,0] neg_lo:[1,1] neg_hi:[1,1]
	v_pk_fma_f16 v43, v43, s6, v47 op_sel_hi:[1,0,1] neg_lo:[1,0,1] neg_hi:[1,0,1]
	s_movk_i32 s0, 0x370e
	v_pk_fma_f16 v23, v44, s1, v30 op_sel_hi:[1,0,1] neg_lo:[1,0,0] neg_hi:[1,0,0]
	v_pk_fma_f16 v30, v21, s5, v47 op_sel_hi:[1,0,1] neg_lo:[1,0,0] neg_hi:[1,0,0]
	v_pk_add_f16 v48, v48, v46 op_sel:[0,1] op_sel_hi:[1,0]
	v_pk_fma_f16 v43, v32, s0, v43 op_sel_hi:[1,0,1]
	v_pk_add_f16 v23, v23, v46
	v_pk_fma_f16 v30, v32, s0, v30 op_sel_hi:[1,0,1]
	v_pk_add_f16 v49, v48, v43
	v_pk_add_f16 v43, v48, v43 neg_lo:[0,1] neg_hi:[0,1]
	v_pk_add_f16 v45, v23, v30 op_sel:[0,1] op_sel_hi:[1,0] neg_lo:[0,1] neg_hi:[0,1]
	v_pk_add_f16 v23, v23, v30 op_sel:[0,1] op_sel_hi:[1,0]
	s_mov_b32 s4, 0xffff
	v_mad_u32_u24 v24, v3, 24, v27
	v_alignbit_b32 v48, v43, v49, 16
	v_bfi_b32 v30, s4, v45, v23
	s_waitcnt lgkmcnt(0)
	; wave barrier
	ds_write2_b32 v24, v48, v30 offset0:2 offset1:3
	v_bfi_b32 v23, s4, v23, v45
	v_alignbit_b32 v30, v49, v43, 16
	ds_write2_b32 v24, v23, v30 offset0:4 offset1:5
	v_pk_fma_f16 v23, v44, s1, v34 op_sel_hi:[1,0,1]
	v_pk_fma_f16 v21, v21, s5, v36 op_sel_hi:[1,0,1]
	v_pk_add_f16 v23, v23, v46
	v_pk_fma_f16 v21, v32, s0, v21 op_sel_hi:[1,0,1]
	v_pk_add_f16 v30, v23, v21 op_sel:[0,1] op_sel_hi:[1,0]
	v_pk_add_f16 v21, v23, v21 op_sel:[0,1] op_sel_hi:[1,0] neg_lo:[0,1] neg_hi:[0,1]
	v_pk_add_f16 v39, v20, v37
	v_pk_add_f16 v40, v22, v31
	v_bfi_b32 v23, s4, v21, v30
	v_bfi_b32 v21, s4, v30, v21
	v_pk_add_f16 v41, v29, v33
	v_pk_add_f16 v42, v40, v39
	ds_write2_b32 v24, v38, v21 offset1:1
	ds_write_b32 v24, v23 offset:24
	v_pk_add_f16 v20, v20, v37 neg_lo:[0,1] neg_hi:[0,1]
	v_pk_add_f16 v21, v22, v31 neg_lo:[0,1] neg_hi:[0,1]
	v_pk_add_f16 v42, v41, v42
	v_pk_add_f16 v22, v33, v29 neg_lo:[0,1] neg_hi:[0,1]
	v_pk_add_f16 v23, v40, v39 neg_lo:[0,1] neg_hi:[0,1]
	;; [unrolled: 1-line block ×4, first 2 shown]
	v_pk_add_f16 v35, v35, v42
	v_pk_add_f16 v29, v22, v21
	v_pk_add_f16 v30, v20, v22 neg_lo:[0,1] neg_hi:[0,1]
	v_pk_mul_f16 v24, v24, s7 op_sel_hi:[1,0]
	v_pk_mul_f16 v23, v23, s8 op_sel_hi:[1,0]
	;; [unrolled: 1-line block ×3, first 2 shown]
	v_pk_add_f16 v36, v41, v40 neg_lo:[0,1] neg_hi:[0,1]
	v_pk_add_f16 v21, v22, v21 neg_lo:[0,1] neg_hi:[0,1]
	v_pk_add_f16 v20, v29, v20
	v_pk_mul_f16 v29, v30, s6 op_sel_hi:[1,0]
	v_pk_fma_f16 v32, v42, s14, v35 op_sel_hi:[1,0,1] neg_lo:[1,0,0] neg_hi:[1,0,0]
	v_pk_add_f16 v33, v24, v23 op_sel:[1,1] op_sel_hi:[0,0] neg_lo:[1,1] neg_hi:[1,1]
	v_pk_fma_f16 v30, v30, s6, v31 op_sel_hi:[1,0,1] neg_lo:[1,0,1] neg_hi:[1,0,1]
	v_pk_fma_f16 v22, v36, s1, v23 op_sel_hi:[1,0,1] neg_lo:[1,0,0] neg_hi:[1,0,0]
	;; [unrolled: 1-line block ×3, first 2 shown]
	v_pk_add_f16 v33, v33, v32 op_sel:[0,1] op_sel_hi:[1,0]
	v_pk_fma_f16 v30, v20, s0, v30 op_sel_hi:[1,0,1]
	v_pk_add_f16 v22, v22, v32
	v_pk_fma_f16 v23, v20, s0, v23 op_sel_hi:[1,0,1]
	v_pk_add_f16 v34, v33, v30
	v_pk_add_f16 v30, v33, v30 neg_lo:[0,1] neg_hi:[0,1]
	v_pk_add_f16 v31, v22, v23 op_sel:[0,1] op_sel_hi:[1,0] neg_lo:[0,1] neg_hi:[0,1]
	v_pk_add_f16 v22, v22, v23 op_sel:[0,1] op_sel_hi:[1,0]
	v_mad_i32_i24 v19, v7, 28, v0
	v_alignbit_b32 v33, v30, v34, 16
	v_bfi_b32 v23, s4, v31, v22
	ds_write2_b32 v19, v33, v23 offset0:2 offset1:3
	v_bfi_b32 v22, s4, v22, v31
	v_alignbit_b32 v23, v34, v30, 16
	ds_write2_b32 v19, v22, v23 offset0:4 offset1:5
	v_pk_fma_f16 v22, v36, s1, v24 op_sel_hi:[1,0,1]
	v_pk_fma_f16 v21, v21, s5, v29 op_sel_hi:[1,0,1]
	v_pk_add_f16 v22, v22, v32
	v_pk_fma_f16 v20, v20, s0, v21 op_sel_hi:[1,0,1]
	v_pk_add_f16 v21, v22, v20 op_sel:[0,1] op_sel_hi:[1,0]
	v_pk_add_f16 v20, v22, v20 op_sel:[0,1] op_sel_hi:[1,0] neg_lo:[0,1] neg_hi:[0,1]
	v_bfi_b32 v22, s4, v20, v21
	v_bfi_b32 v20, s4, v21, v20
	ds_write2_b32 v19, v35, v20 offset1:1
	ds_write_b32 v19, v22 offset:24
	v_mov_b32_e32 v20, 37
	v_mul_lo_u16_sdwa v23, v9, v20 dst_sel:DWORD dst_unused:UNUSED_PAD src0_sel:BYTE_0 src1_sel:DWORD
	v_sub_u16_sdwa v24, v9, v23 dst_sel:DWORD dst_unused:UNUSED_PAD src0_sel:DWORD src1_sel:BYTE_1
	v_lshrrev_b16_e32 v24, 1, v24
	v_and_b32_e32 v24, 0x7f, v24
	v_add_u16_sdwa v23, v24, v23 dst_sel:DWORD dst_unused:UNUSED_PAD src0_sel:DWORD src1_sel:BYTE_1
	v_lshrrev_b16_e32 v24, 2, v23
	v_mul_lo_u16_e32 v23, 7, v24
	v_sub_u16_e32 v29, v9, v23
	v_mov_b32_e32 v23, 2
	v_lshlrev_b32_sdwa v37, v23, v29 dst_sel:DWORD dst_unused:UNUSED_PAD src0_sel:DWORD src1_sel:BYTE_0
	v_mul_lo_u16_sdwa v29, v11, v20 dst_sel:DWORD dst_unused:UNUSED_PAD src0_sel:BYTE_0 src1_sel:DWORD
	v_sub_u16_sdwa v30, v11, v29 dst_sel:DWORD dst_unused:UNUSED_PAD src0_sel:DWORD src1_sel:BYTE_1
	v_lshrrev_b16_e32 v30, 1, v30
	v_and_b32_e32 v30, 0x7f, v30
	v_add_u16_sdwa v29, v30, v29 dst_sel:DWORD dst_unused:UNUSED_PAD src0_sel:DWORD src1_sel:BYTE_1
	v_lshrrev_b16_e32 v38, 2, v29
	v_mul_lo_u16_e32 v29, 7, v38
	v_sub_u16_e32 v29, v11, v29
	v_lshlrev_b32_sdwa v39, v23, v29 dst_sel:DWORD dst_unused:UNUSED_PAD src0_sel:DWORD src1_sel:BYTE_0
	v_mul_lo_u16_sdwa v29, v13, v20 dst_sel:DWORD dst_unused:UNUSED_PAD src0_sel:BYTE_0 src1_sel:DWORD
	v_sub_u16_sdwa v30, v13, v29 dst_sel:DWORD dst_unused:UNUSED_PAD src0_sel:DWORD src1_sel:BYTE_1
	v_lshrrev_b16_e32 v30, 1, v30
	v_and_b32_e32 v30, 0x7f, v30
	v_add_u16_sdwa v29, v30, v29 dst_sel:DWORD dst_unused:UNUSED_PAD src0_sel:DWORD src1_sel:BYTE_1
	v_lshrrev_b16_e32 v40, 2, v29
	v_mul_lo_u16_e32 v29, 7, v40
	v_sub_u16_e32 v29, v13, v29
	v_mul_lo_u16_sdwa v21, v3, v20 dst_sel:DWORD dst_unused:UNUSED_PAD src0_sel:BYTE_0 src1_sel:DWORD
	v_lshlrev_b32_sdwa v41, v23, v29 dst_sel:DWORD dst_unused:UNUSED_PAD src0_sel:DWORD src1_sel:BYTE_0
	v_mul_lo_u16_sdwa v29, v7, v20 dst_sel:DWORD dst_unused:UNUSED_PAD src0_sel:BYTE_0 src1_sel:DWORD
	v_mul_lo_u16_sdwa v31, v17, v20 dst_sel:DWORD dst_unused:UNUSED_PAD src0_sel:BYTE_0 src1_sel:DWORD
	;; [unrolled: 1-line block ×3, first 2 shown]
	v_sub_u16_sdwa v33, v15, v20 dst_sel:DWORD dst_unused:UNUSED_PAD src0_sel:DWORD src1_sel:BYTE_1
	v_lshrrev_b16_e32 v33, 1, v33
	v_and_b32_e32 v33, 0x7f, v33
	v_add_u16_sdwa v20, v33, v20 dst_sel:DWORD dst_unused:UNUSED_PAD src0_sel:DWORD src1_sel:BYTE_1
	v_sub_u16_sdwa v32, v17, v31 dst_sel:DWORD dst_unused:UNUSED_PAD src0_sel:DWORD src1_sel:BYTE_1
	v_lshrrev_b16_e32 v45, 2, v20
	v_lshrrev_b16_e32 v32, 1, v32
	v_mul_lo_u16_e32 v20, 7, v45
	v_and_b32_e32 v32, 0x7f, v32
	v_sub_u16_e32 v20, v15, v20
	v_lshlrev_b32_sdwa v46, v23, v20 dst_sel:DWORD dst_unused:UNUSED_PAD src0_sel:DWORD src1_sel:BYTE_0
	v_add_u16_sdwa v20, v32, v31 dst_sel:DWORD dst_unused:UNUSED_PAD src0_sel:DWORD src1_sel:BYTE_1
	v_sub_u16_sdwa v30, v7, v29 dst_sel:DWORD dst_unused:UNUSED_PAD src0_sel:DWORD src1_sel:BYTE_1
	v_lshrrev_b16_e32 v48, 2, v20
	v_lshrrev_b16_e32 v30, 1, v30
	v_mul_lo_u16_e32 v20, 7, v48
	v_and_b32_e32 v30, 0x7f, v30
	v_sub_u16_e32 v20, v17, v20
	v_lshlrev_b32_sdwa v49, v23, v20 dst_sel:DWORD dst_unused:UNUSED_PAD src0_sel:DWORD src1_sel:BYTE_0
	v_add_u16_sdwa v20, v30, v29 dst_sel:DWORD dst_unused:UNUSED_PAD src0_sel:DWORD src1_sel:BYTE_1
	v_sub_u16_sdwa v22, v3, v21 dst_sel:DWORD dst_unused:UNUSED_PAD src0_sel:DWORD src1_sel:BYTE_1
	v_lshrrev_b16_e32 v51, 2, v20
	v_lshrrev_b16_e32 v22, 1, v22
	v_mul_lo_u16_e32 v20, 7, v51
	s_waitcnt lgkmcnt(0)
	; wave barrier
	s_waitcnt lgkmcnt(0)
	global_load_dword v42, v37, s[12:13]
	global_load_dword v43, v39, s[12:13]
	;; [unrolled: 1-line block ×3, first 2 shown]
	v_and_b32_e32 v22, 0x7f, v22
	v_sub_u16_e32 v20, v7, v20
	v_lshlrev_b32_sdwa v52, v23, v20 dst_sel:DWORD dst_unused:UNUSED_PAD src0_sel:DWORD src1_sel:BYTE_0
	v_add_u16_sdwa v20, v22, v21 dst_sel:DWORD dst_unused:UNUSED_PAD src0_sel:DWORD src1_sel:BYTE_1
	v_lshrrev_b16_e32 v22, 2, v20
	global_load_dword v47, v46, s[12:13]
	global_load_dword v50, v49, s[12:13]
	;; [unrolled: 1-line block ×3, first 2 shown]
	v_mul_lo_u16_e32 v20, 7, v22
	v_sub_u16_e32 v20, v3, v20
	v_lshlrev_b32_sdwa v54, v23, v20 dst_sel:DWORD dst_unused:UNUSED_PAD src0_sel:DWORD src1_sel:BYTE_0
	global_load_dword v55, v54, s[12:13]
	s_movk_i32 s0, 0xffe8
	v_mad_u32_u24 v24, v24, 56, 0
	v_mad_i32_i24 v34, v7, s0, v19
	v_lshl_add_u32 v33, v17, 2, v0
	v_mad_u32_u24 v48, v48, 56, 0
	v_mad_u32_u24 v45, v45, 56, 0
	v_add3_u32 v24, v24, v37, v28
	v_mad_u32_u24 v37, v38, 56, 0
	ds_read_b32 v56, v25
	ds_read2_b32 v[20:21], v27 offset0:112 offset1:128
	ds_read2_b32 v[35:36], v27 offset0:144 offset1:160
	v_lshl_add_u32 v32, v15, 2, v0
	v_lshl_add_u32 v31, v9, 2, v0
	;; [unrolled: 1-line block ×4, first 2 shown]
	ds_read_b32 v19, v33
	ds_read_b32 v57, v32
	;; [unrolled: 1-line block ×5, first 2 shown]
	v_add3_u32 v48, v48, v49, v28
	v_add3_u32 v45, v45, v46, v28
	ds_read_b32 v46, v34
	ds_read_b32 v49, v27 offset:832
	v_add3_u32 v39, v37, v39, v28
	v_mad_u32_u24 v37, v40, 56, 0
	v_add3_u32 v40, v37, v41, v28
	ds_read2_b32 v[37:38], v27 offset0:176 offset1:192
	v_mad_u32_u24 v51, v51, 56, 0
	v_add3_u32 v51, v51, v52, v28
	v_mad_u32_u24 v22, v22, 56, 0
	v_add3_u32 v22, v22, v54, v28
	s_waitcnt lgkmcnt(0)
	; wave barrier
	s_waitcnt lgkmcnt(0)
	v_cmp_gt_u32_e64 s[0:1], 14, v3
	s_movk_i32 s5, 0x70
	s_waitcnt vmcnt(4)
	v_pk_mul_f16 v41, v49, v44 op_sel:[0,1]
	v_pk_fma_f16 v52, v49, v44, v41 op_sel:[0,0,1] op_sel_hi:[1,1,0] neg_lo:[0,0,1] neg_hi:[0,0,1]
	v_pk_fma_f16 v41, v49, v44, v41 op_sel:[0,0,1] op_sel_hi:[1,0,0]
	v_pk_mul_f16 v49, v38, v43 op_sel:[0,1]
	v_bfi_b32 v41, s4, v52, v41
	v_pk_fma_f16 v52, v38, v43, v49 op_sel:[0,0,1] op_sel_hi:[1,1,0] neg_lo:[0,0,1] neg_hi:[0,0,1]
	v_pk_fma_f16 v38, v38, v43, v49 op_sel:[0,0,1] op_sel_hi:[1,0,0]
	v_pk_mul_f16 v49, v37, v42 op_sel:[0,1]
	v_bfi_b32 v38, s4, v52, v38
	v_pk_fma_f16 v52, v37, v42, v49 op_sel:[0,0,1] op_sel_hi:[1,1,0] neg_lo:[0,0,1] neg_hi:[0,0,1]
	v_pk_fma_f16 v37, v37, v42, v49 op_sel:[0,0,1] op_sel_hi:[1,0,0]
	s_waitcnt vmcnt(3)
	v_pk_mul_f16 v49, v47, v36 op_sel:[0,1]
	v_bfi_b32 v37, s4, v52, v37
	v_pk_fma_f16 v52, v47, v36, v49 op_sel:[0,0,1] op_sel_hi:[1,1,0] neg_lo:[0,0,1] neg_hi:[0,0,1]
	v_pk_fma_f16 v36, v47, v36, v49 op_sel:[0,0,1] op_sel_hi:[1,0,0]
	s_waitcnt vmcnt(2)
	;; [unrolled: 5-line block ×3, first 2 shown]
	v_pk_mul_f16 v49, v53, v21 op_sel:[0,1]
	v_pk_fma_f16 v50, v53, v21, v49 op_sel:[0,0,1] op_sel_hi:[1,1,0] neg_lo:[0,0,1] neg_hi:[0,0,1]
	v_pk_fma_f16 v21, v53, v21, v49 op_sel:[0,0,1] op_sel_hi:[1,0,0]
	s_waitcnt vmcnt(0)
	v_pk_mul_f16 v49, v55, v20 op_sel:[0,1]
	v_bfi_b32 v21, s4, v50, v21
	v_pk_fma_f16 v50, v55, v20, v49 op_sel:[0,0,1] op_sel_hi:[1,1,0] neg_lo:[0,0,1] neg_hi:[0,0,1]
	v_pk_fma_f16 v20, v55, v20, v49 op_sel:[0,0,1] op_sel_hi:[1,0,0]
	v_bfi_b32 v20, s4, v50, v20
	v_bfi_b32 v35, s4, v52, v35
	v_pk_add_f16 v20, v56, v20 neg_lo:[0,1] neg_hi:[0,1]
	v_pk_add_f16 v41, v60, v41 neg_lo:[0,1] neg_hi:[0,1]
	v_pk_add_f16 v38, v59, v38 neg_lo:[0,1] neg_hi:[0,1]
	v_pk_add_f16 v37, v58, v37 neg_lo:[0,1] neg_hi:[0,1]
	v_pk_add_f16 v36, v57, v36 neg_lo:[0,1] neg_hi:[0,1]
	v_pk_add_f16 v35, v19, v35 neg_lo:[0,1] neg_hi:[0,1]
	v_pk_add_f16 v21, v46, v21 neg_lo:[0,1] neg_hi:[0,1]
	v_pk_fma_f16 v49, v56, 2.0, v20 op_sel_hi:[1,0,1] neg_lo:[0,0,1] neg_hi:[0,0,1]
	v_pk_fma_f16 v44, v60, 2.0, v41 op_sel_hi:[1,0,1] neg_lo:[0,0,1] neg_hi:[0,0,1]
	;; [unrolled: 1-line block ×7, first 2 shown]
	ds_write2_b32 v22, v49, v20 offset1:7
	ds_write2_b32 v51, v46, v21 offset1:7
	;; [unrolled: 1-line block ×7, first 2 shown]
	v_mov_b32_e32 v24, 1
	v_lshrrev_b16_sdwa v20, v24, v11 dst_sel:DWORD dst_unused:UNUSED_PAD src0_sel:DWORD src1_sel:BYTE_0
	v_mul_lo_u16_e32 v20, 0x93, v20
	v_lshrrev_b16_e32 v40, 10, v20
	v_mul_lo_u16_e32 v20, 14, v40
	v_sub_u16_e32 v20, v11, v20
	v_lshlrev_b32_sdwa v41, v23, v20 dst_sel:DWORD dst_unused:UNUSED_PAD src0_sel:DWORD src1_sel:BYTE_0
	v_lshrrev_b16_sdwa v20, v24, v13 dst_sel:DWORD dst_unused:UNUSED_PAD src0_sel:DWORD src1_sel:BYTE_0
	v_mul_lo_u16_e32 v20, 0x93, v20
	v_lshrrev_b16_sdwa v35, v24, v7 dst_sel:DWORD dst_unused:UNUSED_PAD src0_sel:DWORD src1_sel:BYTE_0
	v_lshrrev_b16_sdwa v36, v24, v17 dst_sel:DWORD dst_unused:UNUSED_PAD src0_sel:DWORD src1_sel:BYTE_0
	;; [unrolled: 1-line block ×4, first 2 shown]
	v_lshrrev_b16_e32 v42, 10, v20
	v_mul_lo_u16_e32 v24, 0x93, v24
	v_mul_lo_u16_e32 v20, 14, v42
	v_lshrrev_b16_e32 v24, 10, v24
	v_mul_lo_u16_e32 v37, 0x93, v37
	v_sub_u16_e32 v20, v13, v20
	v_mul_lo_u16_e32 v38, 14, v24
	v_lshrrev_b16_e32 v48, 10, v37
	s_waitcnt lgkmcnt(0)
	; wave barrier
	s_waitcnt lgkmcnt(0)
	v_lshlrev_b32_sdwa v43, v23, v20 dst_sel:DWORD dst_unused:UNUSED_PAD src0_sel:DWORD src1_sel:BYTE_0
	global_load_dword v44, v41, s[12:13] offset:28
	global_load_dword v45, v43, s[12:13] offset:28
	v_sub_u16_e32 v38, v9, v38
	v_mul_lo_u16_e32 v37, 14, v48
	v_mul_lo_u16_e32 v36, 0x93, v36
	v_lshlrev_b32_sdwa v46, v23, v38 dst_sel:DWORD dst_unused:UNUSED_PAD src0_sel:DWORD src1_sel:BYTE_0
	v_sub_u16_e32 v37, v15, v37
	v_lshrrev_b16_e32 v51, 10, v36
	v_add_u32_e32 v19, -14, v3
	global_load_dword v47, v46, s[12:13] offset:28
	v_lshlrev_b32_sdwa v49, v23, v37 dst_sel:DWORD dst_unused:UNUSED_PAD src0_sel:DWORD src1_sel:BYTE_0
	global_load_dword v50, v49, s[12:13] offset:28
	v_mul_lo_u16_e32 v36, 14, v51
	v_mul_lo_u16_e32 v35, 0x93, v35
	v_cndmask_b32_e64 v19, v19, v3, s[0:1]
	v_mov_b32_e32 v20, 0
	v_sub_u16_e32 v36, v17, v36
	v_lshrrev_b16_e32 v54, 10, v35
	v_lshlrev_b64 v[21:22], 2, v[19:20]
	v_lshlrev_b32_sdwa v52, v23, v36 dst_sel:DWORD dst_unused:UNUSED_PAD src0_sel:DWORD src1_sel:BYTE_0
	global_load_dword v53, v52, s[12:13] offset:28
	v_mul_lo_u16_e32 v35, 14, v54
	v_sub_u16_e32 v35, v7, v35
	v_lshlrev_b32_sdwa v55, v23, v35 dst_sel:DWORD dst_unused:UNUSED_PAD src0_sel:DWORD src1_sel:BYTE_0
	global_load_dword v56, v55, s[12:13] offset:28
	v_mov_b32_e32 v35, s13
	v_add_co_u32_e64 v21, s[0:1], s12, v21
	v_addc_co_u32_e64 v22, s[0:1], v35, v22, s[0:1]
	global_load_dword v57, v[21:22], off offset:28
	v_mov_b32_e32 v59, 0x70
	v_cmp_lt_u32_e64 s[0:1], 13, v3
	v_cndmask_b32_e64 v59, 0, v59, s[0:1]
	v_add_u32_e32 v59, 0, v59
	v_lshlrev_b32_e32 v19, 2, v19
	v_mad_u32_u24 v54, v54, s5, 0
	v_mad_u32_u24 v48, v48, s5, 0
	;; [unrolled: 1-line block ×3, first 2 shown]
	ds_read_b32 v58, v25
	ds_read2_b32 v[21:22], v27 offset0:112 offset1:128
	ds_read2_b32 v[36:37], v27 offset0:144 offset1:160
	ds_read2_b32 v[38:39], v27 offset0:176 offset1:192
	v_add3_u32 v19, v59, v19, v28
	v_add3_u32 v54, v54, v55, v28
	ds_read_b32 v55, v33
	ds_read_b32 v59, v32
	;; [unrolled: 1-line block ×5, first 2 shown]
	v_add3_u32 v48, v48, v49, v28
	v_add3_u32 v24, v24, v46, v28
	ds_read_b32 v46, v34
	ds_read_b32 v49, v27 offset:832
	v_mad_u32_u24 v40, v40, s5, 0
	v_add3_u32 v40, v40, v41, v28
	v_mad_u32_u24 v41, v42, s5, 0
	v_add3_u32 v41, v41, v43, v28
	;; [unrolled: 2-line block ×3, first 2 shown]
	s_waitcnt lgkmcnt(0)
	; wave barrier
	s_waitcnt lgkmcnt(0)
	s_movk_i32 s5, 0xe0
	v_lshlrev_b64 v[17:18], 2, v[17:18]
	s_waitcnt vmcnt(5)
	v_pk_mul_f16 v42, v49, v45 op_sel:[0,1]
	v_pk_fma_f16 v43, v49, v45, v42 op_sel:[0,0,1] op_sel_hi:[1,1,0] neg_lo:[0,0,1] neg_hi:[0,0,1]
	v_pk_fma_f16 v42, v49, v45, v42 op_sel:[0,0,1] op_sel_hi:[1,0,0]
	v_pk_mul_f16 v45, v39, v44 op_sel:[0,1]
	v_pk_fma_f16 v49, v39, v44, v45 op_sel:[0,0,1] op_sel_hi:[1,1,0] neg_lo:[0,0,1] neg_hi:[0,0,1]
	v_pk_fma_f16 v39, v39, v44, v45 op_sel:[0,0,1] op_sel_hi:[1,0,0]
	v_bfi_b32 v39, s4, v49, v39
	v_bfi_b32 v42, s4, v43, v42
	s_waitcnt vmcnt(4)
	v_pk_mul_f16 v45, v47, v38 op_sel:[0,1]
	v_pk_fma_f16 v49, v47, v38, v45 op_sel:[0,0,1] op_sel_hi:[1,1,0] neg_lo:[0,0,1] neg_hi:[0,0,1]
	v_pk_fma_f16 v38, v47, v38, v45 op_sel:[0,0,1] op_sel_hi:[1,0,0]
	s_waitcnt vmcnt(3)
	v_pk_mul_f16 v47, v50, v37 op_sel:[0,1]
	v_bfi_b32 v38, s4, v49, v38
	v_pk_fma_f16 v49, v50, v37, v47 op_sel:[0,0,1] op_sel_hi:[1,1,0] neg_lo:[0,0,1] neg_hi:[0,0,1]
	v_pk_fma_f16 v37, v50, v37, v47 op_sel:[0,0,1] op_sel_hi:[1,0,0]
	v_bfi_b32 v37, s4, v49, v37
	v_pk_add_f16 v42, v62, v42 neg_lo:[0,1] neg_hi:[0,1]
	v_pk_add_f16 v39, v61, v39 neg_lo:[0,1] neg_hi:[0,1]
	v_pk_add_f16 v38, v60, v38 neg_lo:[0,1] neg_hi:[0,1]
	s_waitcnt vmcnt(2)
	v_pk_mul_f16 v49, v53, v36 op_sel:[0,1]
	v_pk_fma_f16 v50, v53, v36, v49 op_sel:[0,0,1] op_sel_hi:[1,1,0] neg_lo:[0,0,1] neg_hi:[0,0,1]
	v_pk_fma_f16 v36, v53, v36, v49 op_sel:[0,0,1] op_sel_hi:[1,0,0]
	v_bfi_b32 v36, s4, v50, v36
	s_waitcnt vmcnt(1)
	v_pk_mul_f16 v50, v56, v22 op_sel:[0,1]
	v_pk_fma_f16 v52, v56, v22, v50 op_sel:[0,0,1] op_sel_hi:[1,1,0] neg_lo:[0,0,1] neg_hi:[0,0,1]
	v_pk_fma_f16 v22, v56, v22, v50 op_sel:[0,0,1] op_sel_hi:[1,0,0]
	v_bfi_b32 v22, s4, v52, v22
	v_pk_add_f16 v37, v59, v37 neg_lo:[0,1] neg_hi:[0,1]
	v_pk_add_f16 v36, v55, v36 neg_lo:[0,1] neg_hi:[0,1]
	s_waitcnt vmcnt(0)
	v_pk_mul_f16 v50, v57, v21 op_sel:[0,1]
	v_pk_fma_f16 v52, v57, v21, v50 op_sel:[0,0,1] op_sel_hi:[1,1,0] neg_lo:[0,0,1] neg_hi:[0,0,1]
	v_pk_fma_f16 v21, v57, v21, v50 op_sel:[0,0,1] op_sel_hi:[1,0,0]
	v_bfi_b32 v21, s4, v52, v21
	v_pk_add_f16 v21, v58, v21 neg_lo:[0,1] neg_hi:[0,1]
	v_pk_add_f16 v22, v46, v22 neg_lo:[0,1] neg_hi:[0,1]
	v_pk_fma_f16 v50, v58, 2.0, v21 op_sel_hi:[1,0,1] neg_lo:[0,0,1] neg_hi:[0,0,1]
	v_pk_fma_f16 v43, v62, 2.0, v42 op_sel_hi:[1,0,1] neg_lo:[0,0,1] neg_hi:[0,0,1]
	;; [unrolled: 1-line block ×7, first 2 shown]
	ds_write2_b32 v19, v50, v21 offset1:14
	ds_write2_b32 v54, v46, v22 offset1:14
	;; [unrolled: 1-line block ×7, first 2 shown]
	v_lshlrev_b64 v[21:22], 2, v[3:4]
	s_waitcnt lgkmcnt(0)
	v_add_co_u32_e64 v21, s[0:1], s12, v21
	v_addc_co_u32_e64 v22, s[0:1], v35, v22, s[0:1]
	; wave barrier
	global_load_dword v4, v[21:22], off offset:84
	global_load_dword v40, v[21:22], off offset:100
	v_lshrrev_b16_sdwa v36, v23, v13 dst_sel:DWORD dst_unused:UNUSED_PAD src0_sel:DWORD src1_sel:BYTE_0
	v_mov_b32_e32 v24, 28
	v_mul_lo_u16_e32 v36, 37, v36
	v_lshrrev_b16_sdwa v37, v23, v9 dst_sel:DWORD dst_unused:UNUSED_PAD src0_sel:DWORD src1_sel:BYTE_0
	v_lshrrev_b16_sdwa v19, v23, v11 dst_sel:DWORD dst_unused:UNUSED_PAD src0_sel:DWORD src1_sel:BYTE_0
	v_mul_lo_u16_sdwa v36, v36, v24 dst_sel:DWORD dst_unused:UNUSED_PAD src0_sel:BYTE_1 src1_sel:DWORD
	v_mul_lo_u16_e32 v37, 37, v37
	v_mul_lo_u16_e32 v19, 37, v19
	v_sub_u16_e32 v36, v13, v36
	v_mul_lo_u16_sdwa v24, v37, v24 dst_sel:DWORD dst_unused:UNUSED_PAD src0_sel:BYTE_1 src1_sel:DWORD
	v_lshrrev_b16_e32 v41, 8, v19
	v_lshlrev_b32_sdwa v42, v23, v36 dst_sel:DWORD dst_unused:UNUSED_PAD src0_sel:DWORD src1_sel:BYTE_0
	v_lshrrev_b16_sdwa v36, v23, v15 dst_sel:DWORD dst_unused:UNUSED_PAD src0_sel:DWORD src1_sel:BYTE_0
	v_sub_u16_e32 v24, v9, v24
	v_mul_lo_u16_e32 v19, 28, v41
	v_lshlrev_b32_sdwa v46, v23, v24 dst_sel:DWORD dst_unused:UNUSED_PAD src0_sel:DWORD src1_sel:BYTE_0
	v_mul_lo_u16_e32 v24, 37, v36
	v_sub_u16_e32 v19, v11, v19
	v_lshrrev_b16_e32 v48, 8, v24
	v_lshlrev_b32_sdwa v44, v23, v19 dst_sel:DWORD dst_unused:UNUSED_PAD src0_sel:DWORD src1_sel:BYTE_0
	v_add_u32_e32 v19, -12, v3
	v_cmp_gt_u32_e64 s[0:1], 28, v7
	v_mul_lo_u16_e32 v24, 28, v48
	v_cndmask_b32_e64 v19, v19, v7, s[0:1]
	v_sub_u16_e32 v24, v15, v24
	global_load_dword v43, v42, s[12:13] offset:84
	global_load_dword v45, v44, s[12:13] offset:84
	;; [unrolled: 1-line block ×3, first 2 shown]
	v_lshlrev_b32_sdwa v49, v23, v24 dst_sel:DWORD dst_unused:UNUSED_PAD src0_sel:DWORD src1_sel:BYTE_0
	global_load_dword v50, v49, s[12:13] offset:84
	v_lshlrev_b64 v[23:24], 2, v[19:20]
	v_lshlrev_b32_e32 v19, 2, v19
	v_add_co_u32_e64 v23, s[0:1], s12, v23
	v_addc_co_u32_e64 v24, s[0:1], v35, v24, s[0:1]
	global_load_dword v51, v[23:24], off offset:84
	ds_read_b32 v52, v25
	ds_read2_b32 v[23:24], v27 offset0:112 offset1:128
	ds_read2_b32 v[36:37], v27 offset0:144 offset1:160
	;; [unrolled: 1-line block ×3, first 2 shown]
	ds_read_b32 v53, v33
	ds_read_b32 v54, v32
	;; [unrolled: 1-line block ×5, first 2 shown]
	v_cmp_lt_u32_e64 s[0:1], 27, v7
	v_mad_u32_u24 v48, v48, s5, 0
	v_add3_u32 v48, v48, v49, v28
	v_mad_u32_u24 v41, v41, s5, 0
	v_add3_u32 v41, v41, v44, v28
	v_add_u32_e32 v46, v0, v46
	v_add_u32_e32 v42, v0, v42
	v_lshlrev_b64 v[13:14], 2, v[13:14]
	v_lshlrev_b64 v[11:12], 2, v[11:12]
	s_waitcnt vmcnt(6) lgkmcnt(7)
	v_pk_mul_f16 v58, v4, v23 op_sel:[0,1]
	v_pk_fma_f16 v59, v4, v23, v58 op_sel:[0,0,1] op_sel_hi:[1,1,0] neg_lo:[0,0,1] neg_hi:[0,0,1]
	v_pk_fma_f16 v4, v4, v23, v58 op_sel:[0,0,1] op_sel_hi:[1,0,0]
	v_mov_b32_e32 v23, 0xe0
	v_cndmask_b32_e64 v23, 0, v23, s[0:1]
	v_bfi_b32 v4, s4, v59, v4
	v_add_u32_e32 v23, 0, v23
	v_pk_add_f16 v4, v52, v4 neg_lo:[0,1] neg_hi:[0,1]
	v_add3_u32 v19, v23, v19, v28
	s_waitcnt vmcnt(5) lgkmcnt(6)
	v_pk_mul_f16 v23, v40, v36 op_sel:[0,1]
	v_pk_fma_f16 v58, v40, v36, v23 op_sel:[0,0,1] op_sel_hi:[1,1,0] neg_lo:[0,0,1] neg_hi:[0,0,1]
	v_pk_fma_f16 v23, v40, v36, v23 op_sel:[0,0,1] op_sel_hi:[1,0,0]
	v_pk_fma_f16 v40, v52, 2.0, v4 op_sel_hi:[1,0,1] neg_lo:[0,0,1] neg_hi:[0,0,1]
	ds_read_b32 v49, v34
	ds_read_b32 v52, v27 offset:832
	v_bfi_b32 v23, s4, v58, v23
	s_waitcnt lgkmcnt(6)
	v_pk_add_f16 v23, v53, v23 neg_lo:[0,1] neg_hi:[0,1]
	v_pk_fma_f16 v36, v53, 2.0, v23 op_sel_hi:[1,0,1] neg_lo:[0,0,1] neg_hi:[0,0,1]
	v_add_co_u32_e64 v17, s[0:1], s12, v17
	v_addc_co_u32_e64 v18, s[0:1], v35, v18, s[0:1]
	s_waitcnt lgkmcnt(0)
	; wave barrier
	s_waitcnt vmcnt(4) lgkmcnt(0)
	v_pk_mul_f16 v44, v52, v43 op_sel:[0,1]
	v_pk_fma_f16 v53, v52, v43, v44 op_sel:[0,0,1] op_sel_hi:[1,1,0] neg_lo:[0,0,1] neg_hi:[0,0,1]
	v_pk_fma_f16 v43, v52, v43, v44 op_sel:[0,0,1] op_sel_hi:[1,0,0]
	s_waitcnt vmcnt(3)
	v_pk_mul_f16 v52, v39, v45 op_sel:[0,1]
	v_bfi_b32 v43, s4, v53, v43
	v_pk_fma_f16 v53, v39, v45, v52 op_sel:[0,0,1] op_sel_hi:[1,1,0] neg_lo:[0,0,1] neg_hi:[0,0,1]
	v_pk_fma_f16 v39, v39, v45, v52 op_sel:[0,0,1] op_sel_hi:[1,0,0]
	s_waitcnt vmcnt(2)
	v_pk_mul_f16 v52, v47, v38 op_sel:[0,1]
	v_bfi_b32 v39, s4, v53, v39
	;; [unrolled: 5-line block ×4, first 2 shown]
	v_pk_fma_f16 v53, v51, v24, v52 op_sel:[0,0,1] op_sel_hi:[1,1,0] neg_lo:[0,0,1] neg_hi:[0,0,1]
	v_pk_fma_f16 v24, v51, v24, v52 op_sel:[0,0,1] op_sel_hi:[1,0,0]
	v_bfi_b32 v24, s4, v53, v24
	v_pk_add_f16 v43, v57, v43 neg_lo:[0,1] neg_hi:[0,1]
	v_pk_add_f16 v39, v56, v39 neg_lo:[0,1] neg_hi:[0,1]
	;; [unrolled: 1-line block ×5, first 2 shown]
	v_pk_fma_f16 v44, v57, 2.0, v43 op_sel_hi:[1,0,1] neg_lo:[0,0,1] neg_hi:[0,0,1]
	v_pk_fma_f16 v45, v56, 2.0, v39 op_sel_hi:[1,0,1] neg_lo:[0,0,1] neg_hi:[0,0,1]
	;; [unrolled: 1-line block ×5, first 2 shown]
	ds_write2_b32 v27, v40, v4 offset1:28
	ds_write2_b32 v19, v49, v24 offset1:28
	ds_write2_b32 v27, v36, v23 offset0:60 offset1:88
	ds_write2_b32 v48, v50, v37 offset1:28
	ds_write2_b32 v46, v47, v38 offset0:112 offset1:140
	;; [unrolled: 2-line block ×3, first 2 shown]
	s_waitcnt lgkmcnt(0)
	; wave barrier
	s_waitcnt lgkmcnt(0)
	v_lshlrev_b64 v[23:24], 2, v[7:8]
	global_load_dword v4, v[17:18], off offset:196
	v_add_co_u32_e64 v23, s[0:1], s12, v23
	v_addc_co_u32_e64 v24, s[0:1], v35, v24, s[0:1]
	v_add_u32_e32 v19, -8, v3
	v_cmp_gt_u32_e64 s[0:1], 56, v15
	global_load_dword v8, v[23:24], off offset:196
	global_load_dword v42, v[21:22], off offset:196
	;; [unrolled: 1-line block ×5, first 2 shown]
	v_cndmask_b32_e64 v19, v19, v15, s[0:1]
	v_lshlrev_b64 v[36:37], 2, v[19:20]
	v_lshlrev_b32_e32 v19, 2, v19
	v_add_co_u32_e64 v36, s[0:1], s12, v36
	v_addc_co_u32_e64 v37, s[0:1], v35, v37, s[0:1]
	global_load_dword v20, v[36:37], off offset:196
	ds_read_b32 v46, v25
	ds_read2_b32 v[36:37], v27 offset0:112 offset1:128
	ds_read2_b32 v[38:39], v27 offset0:144 offset1:160
	;; [unrolled: 1-line block ×3, first 2 shown]
	ds_read_b32 v47, v33
	ds_read_b32 v48, v32
	;; [unrolled: 1-line block ×5, first 2 shown]
	v_cmp_lt_u32_e64 s[0:1], 55, v15
	v_lshlrev_b64 v[15:16], 2, v[15:16]
	s_waitcnt vmcnt(6) lgkmcnt(6)
	v_pk_mul_f16 v52, v4, v38 op_sel:[0,1]
	v_pk_fma_f16 v53, v4, v38, v52 op_sel:[0,0,1] op_sel_hi:[1,1,0] neg_lo:[0,0,1] neg_hi:[0,0,1]
	v_pk_fma_f16 v4, v4, v38, v52 op_sel:[0,0,1] op_sel_hi:[1,0,0]
	s_waitcnt vmcnt(5)
	v_pk_mul_f16 v38, v8, v37 op_sel:[0,1]
	v_bfi_b32 v4, s4, v53, v4
	v_pk_fma_f16 v53, v8, v37, v38 op_sel:[0,0,1] op_sel_hi:[1,1,0] neg_lo:[0,0,1] neg_hi:[0,0,1]
	v_pk_fma_f16 v8, v8, v37, v38 op_sel:[0,0,1] op_sel_hi:[1,0,0]
	s_waitcnt vmcnt(4)
	v_pk_mul_f16 v38, v42, v36 op_sel:[0,1]
	v_bfi_b32 v8, s4, v53, v8
	v_pk_fma_f16 v53, v42, v36, v38 op_sel:[0,0,1] op_sel_hi:[1,1,0] neg_lo:[0,0,1] neg_hi:[0,0,1]
	v_pk_fma_f16 v36, v42, v36, v38 op_sel:[0,0,1] op_sel_hi:[1,0,0]
	v_mov_b32_e32 v38, 0x1c0
	ds_read_b32 v52, v34
	ds_read_b32 v37, v27 offset:832
	v_cndmask_b32_e64 v38, 0, v38, s[0:1]
	v_add_u32_e32 v38, 0, v38
	v_add3_u32 v19, v38, v19, v28
	s_waitcnt vmcnt(2) lgkmcnt(7)
	v_pk_mul_f16 v28, v44, v40 op_sel:[0,1]
	v_pk_fma_f16 v38, v44, v40, v28 op_sel:[0,0,1] op_sel_hi:[1,1,0] neg_lo:[0,0,1] neg_hi:[0,0,1]
	v_pk_fma_f16 v28, v44, v40, v28 op_sel:[0,0,1] op_sel_hi:[1,0,0]
	s_waitcnt vmcnt(1)
	v_pk_mul_f16 v40, v41, v45 op_sel:[0,1]
	v_bfi_b32 v36, s4, v53, v36
	v_pk_fma_f16 v42, v41, v45, v40 op_sel:[0,0,1] op_sel_hi:[1,1,0] neg_lo:[0,0,1] neg_hi:[0,0,1]
	v_pk_fma_f16 v40, v41, v45, v40 op_sel:[0,0,1] op_sel_hi:[1,0,0]
	v_pk_add_f16 v36, v46, v36 neg_lo:[0,1] neg_hi:[0,1]
	v_bfi_b32 v40, s4, v42, v40
	s_waitcnt lgkmcnt(0)
	v_pk_mul_f16 v42, v37, v43 op_sel:[0,1]
	v_pk_add_f16 v4, v47, v4 neg_lo:[0,1] neg_hi:[0,1]
	v_pk_fma_f16 v44, v37, v43, v42 op_sel:[0,0,1] op_sel_hi:[1,1,0] neg_lo:[0,0,1] neg_hi:[0,0,1]
	v_pk_fma_f16 v37, v37, v43, v42 op_sel:[0,0,1] op_sel_hi:[1,0,0]
	v_pk_fma_f16 v43, v46, 2.0, v36 op_sel_hi:[1,0,1] neg_lo:[0,0,1] neg_hi:[0,0,1]
	s_waitcnt vmcnt(0)
	v_pk_mul_f16 v46, v20, v39 op_sel:[0,1]
	v_bfi_b32 v37, s4, v44, v37
	v_pk_fma_f16 v44, v47, 2.0, v4 op_sel_hi:[1,0,1] neg_lo:[0,0,1] neg_hi:[0,0,1]
	v_pk_fma_f16 v47, v20, v39, v46 op_sel:[0,0,1] op_sel_hi:[1,1,0] neg_lo:[0,0,1] neg_hi:[0,0,1]
	v_pk_fma_f16 v20, v20, v39, v46 op_sel:[0,0,1] op_sel_hi:[1,0,0]
	v_bfi_b32 v28, s4, v38, v28
	v_bfi_b32 v20, s4, v47, v20
	v_pk_add_f16 v8, v52, v8 neg_lo:[0,1] neg_hi:[0,1]
	v_pk_add_f16 v28, v49, v28 neg_lo:[0,1] neg_hi:[0,1]
	;; [unrolled: 1-line block ×5, first 2 shown]
	v_pk_fma_f16 v38, v49, 2.0, v28 op_sel_hi:[1,0,1] neg_lo:[0,0,1] neg_hi:[0,0,1]
	v_pk_fma_f16 v41, v50, 2.0, v40 op_sel_hi:[1,0,1] neg_lo:[0,0,1] neg_hi:[0,0,1]
	;; [unrolled: 1-line block ×5, first 2 shown]
	s_waitcnt lgkmcnt(0)
	; wave barrier
	ds_write2_b32 v27, v43, v36 offset1:56
	ds_write2_b32 v34, v45, v8 offset1:56
	;; [unrolled: 1-line block ×4, first 2 shown]
	ds_write2_b32 v27, v38, v41 offset0:120 offset1:136
	ds_write2_b32 v27, v42, v28 offset0:152 offset1:176
	;; [unrolled: 1-line block ×3, first 2 shown]
	s_waitcnt lgkmcnt(0)
	; wave barrier
	s_waitcnt lgkmcnt(0)
	global_load_dword v4, v[17:18], off offset:420
	v_add_co_u32_e64 v15, s[0:1], s12, v15
	v_addc_co_u32_e64 v16, s[0:1], v35, v16, s[0:1]
	global_load_dword v28, v[15:16], off offset:420
	global_load_dword v39, v[23:24], off offset:420
	;; [unrolled: 1-line block ×3, first 2 shown]
	v_add_co_u32_e64 v13, s[0:1], s12, v13
	v_addc_co_u32_e64 v14, s[0:1], v35, v14, s[0:1]
	global_load_dword v41, v[13:14], off offset:420
	v_add_co_u32_e64 v11, s[0:1], s12, v11
	v_addc_co_u32_e64 v12, s[0:1], v35, v12, s[0:1]
	global_load_dword v42, v[11:12], off offset:420
	v_lshlrev_b64 v[8:9], 2, v[9:10]
	v_add_co_u32_e64 v8, s[0:1], s12, v8
	v_addc_co_u32_e64 v9, s[0:1], v35, v9, s[0:1]
	global_load_dword v10, v[8:9], off offset:420
	ds_read_b32 v43, v25
	ds_read2_b32 v[19:20], v27 offset0:112 offset1:128
	ds_read2_b32 v[35:36], v27 offset0:144 offset1:160
	;; [unrolled: 1-line block ×3, first 2 shown]
	ds_read_b32 v44, v33
	ds_read_b32 v45, v32
	;; [unrolled: 1-line block ×5, first 2 shown]
	v_cmp_ne_u32_e64 s[0:1], 0, v3
	s_waitcnt vmcnt(6) lgkmcnt(6)
	v_pk_mul_f16 v49, v4, v35 op_sel:[0,1]
	v_pk_fma_f16 v50, v4, v35, v49 op_sel:[0,0,1] op_sel_hi:[1,1,0] neg_lo:[0,0,1] neg_hi:[0,0,1]
	v_pk_fma_f16 v4, v4, v35, v49 op_sel:[0,0,1] op_sel_hi:[1,0,0]
	v_bfi_b32 v4, s4, v50, v4
	ds_read_b32 v49, v34
	s_waitcnt lgkmcnt(5)
	v_pk_add_f16 v4, v44, v4 neg_lo:[0,1] neg_hi:[0,1]
	v_pk_fma_f16 v35, v44, 2.0, v4 op_sel_hi:[1,0,1] neg_lo:[0,0,1] neg_hi:[0,0,1]
	s_waitcnt vmcnt(4)
	v_pk_mul_f16 v44, v39, v20 op_sel:[0,1]
	v_pk_fma_f16 v50, v39, v20, v44 op_sel:[0,0,1] op_sel_hi:[1,1,0] neg_lo:[0,0,1] neg_hi:[0,0,1]
	v_pk_fma_f16 v20, v39, v20, v44 op_sel:[0,0,1] op_sel_hi:[1,0,0]
	ds_read_b32 v39, v27 offset:832
	v_bfi_b32 v20, s4, v50, v20
	s_waitcnt lgkmcnt(1)
	v_pk_add_f16 v20, v49, v20 neg_lo:[0,1] neg_hi:[0,1]
	v_pk_fma_f16 v44, v49, 2.0, v20 op_sel_hi:[1,0,1] neg_lo:[0,0,1] neg_hi:[0,0,1]
	s_waitcnt vmcnt(3)
	v_pk_mul_f16 v49, v40, v19 op_sel:[0,1]
	v_pk_fma_f16 v50, v40, v19, v49 op_sel:[0,0,1] op_sel_hi:[1,1,0] neg_lo:[0,0,1] neg_hi:[0,0,1]
	v_pk_fma_f16 v19, v40, v19, v49 op_sel:[0,0,1] op_sel_hi:[1,0,0]
	v_bfi_b32 v19, s4, v50, v19
	v_pk_add_f16 v19, v43, v19 neg_lo:[0,1] neg_hi:[0,1]
	v_pk_fma_f16 v40, v43, 2.0, v19 op_sel_hi:[1,0,1] neg_lo:[0,0,1] neg_hi:[0,0,1]
	s_waitcnt vmcnt(2) lgkmcnt(0)
	v_pk_mul_f16 v43, v39, v41 op_sel:[0,1]
	v_pk_fma_f16 v49, v39, v41, v43 op_sel:[0,0,1] op_sel_hi:[1,1,0] neg_lo:[0,0,1] neg_hi:[0,0,1]
	v_pk_fma_f16 v39, v39, v41, v43 op_sel:[0,0,1] op_sel_hi:[1,0,0]
	v_bfi_b32 v39, s4, v49, v39
	v_pk_add_f16 v39, v48, v39 neg_lo:[0,1] neg_hi:[0,1]
	s_waitcnt vmcnt(1)
	v_pk_mul_f16 v43, v38, v42 op_sel:[0,1]
	v_pk_fma_f16 v41, v48, 2.0, v39 op_sel_hi:[1,0,1] neg_lo:[0,0,1] neg_hi:[0,0,1]
	v_pk_fma_f16 v48, v38, v42, v43 op_sel:[0,0,1] op_sel_hi:[1,1,0] neg_lo:[0,0,1] neg_hi:[0,0,1]
	v_pk_fma_f16 v38, v38, v42, v43 op_sel:[0,0,1] op_sel_hi:[1,0,0]
	v_bfi_b32 v38, s4, v48, v38
	v_pk_add_f16 v38, v47, v38 neg_lo:[0,1] neg_hi:[0,1]
	s_waitcnt vmcnt(0)
	v_pk_mul_f16 v43, v10, v37 op_sel:[0,1]
	v_pk_fma_f16 v42, v47, 2.0, v38 op_sel_hi:[1,0,1] neg_lo:[0,0,1] neg_hi:[0,0,1]
	v_pk_fma_f16 v47, v10, v37, v43 op_sel:[0,0,1] op_sel_hi:[1,1,0] neg_lo:[0,0,1] neg_hi:[0,0,1]
	v_pk_fma_f16 v10, v10, v37, v43 op_sel:[0,0,1] op_sel_hi:[1,0,0]
	v_bfi_b32 v10, s4, v47, v10
	v_pk_add_f16 v10, v46, v10 neg_lo:[0,1] neg_hi:[0,1]
	v_pk_mul_f16 v43, v28, v36 op_sel:[0,1]
	v_pk_fma_f16 v37, v46, 2.0, v10 op_sel_hi:[1,0,1] neg_lo:[0,0,1] neg_hi:[0,0,1]
	v_pk_fma_f16 v46, v28, v36, v43 op_sel:[0,0,1] op_sel_hi:[1,1,0] neg_lo:[0,0,1] neg_hi:[0,0,1]
	v_pk_fma_f16 v28, v28, v36, v43 op_sel:[0,0,1] op_sel_hi:[1,0,0]
	v_bfi_b32 v28, s4, v46, v28
	v_pk_add_f16 v28, v45, v28 neg_lo:[0,1] neg_hi:[0,1]
	v_pk_fma_f16 v36, v45, 2.0, v28 op_sel_hi:[1,0,1] neg_lo:[0,0,1] neg_hi:[0,0,1]
	s_waitcnt lgkmcnt(0)
	; wave barrier
	ds_write2_b32 v27, v40, v19 offset1:112
	ds_write2_b32 v34, v44, v20 offset1:112
	;; [unrolled: 1-line block ×7, first 2 shown]
	s_waitcnt lgkmcnt(0)
	; wave barrier
	s_waitcnt lgkmcnt(0)
	ds_read_b32 v27, v25
	v_sub_u32_e32 v4, v0, v26
                                        ; implicit-def: $vgpr19
                                        ; implicit-def: $vgpr10
                                        ; implicit-def: $vgpr20
	s_and_saveexec_b64 s[6:7], s[0:1]
	s_xor_b64 s[0:1], exec, s[6:7]
	s_cbranch_execz .LBB0_15
; %bb.14:
	global_load_dword v10, v[21:22], off offset:868
	ds_read_b32 v19, v4 offset:896
	s_waitcnt lgkmcnt(0)
	v_pk_add_f16 v20, v27, v19 neg_lo:[0,1] neg_hi:[0,1]
	v_pk_add_f16 v19, v19, v27
	v_bfi_b32 v21, s4, v20, v19
	v_bfi_b32 v19, s4, v19, v20
	v_pk_mul_f16 v20, v21, 0.5 op_sel_hi:[1,0]
	v_pk_mul_f16 v21, v19, 0.5 op_sel_hi:[1,0]
                                        ; implicit-def: $vgpr27
	s_waitcnt vmcnt(0)
	v_pk_mul_f16 v22, v10, v20 op_sel:[1,0]
	v_pk_mul_f16 v20, v10, v20 op_sel_hi:[0,1]
	v_pk_fma_f16 v10, v19, 0.5, v22 op_sel_hi:[1,0,1]
	v_sub_f16_e32 v19, v21, v22
	v_sub_f16_sdwa v21, v22, v21 dst_sel:DWORD dst_unused:UNUSED_PAD src0_sel:WORD_1 src1_sel:WORD_1
	v_pk_add_f16 v22, v10, v20 op_sel:[0,1] op_sel_hi:[1,0]
	v_pk_add_f16 v26, v10, v20 op_sel:[0,1] op_sel_hi:[1,0] neg_lo:[0,1] neg_hi:[0,1]
	v_sub_f16_sdwa v10, v19, v20 dst_sel:DWORD dst_unused:UNUSED_PAD src0_sel:DWORD src1_sel:WORD_1
	v_bfi_b32 v19, s4, v22, v26
	v_sub_f16_e32 v20, v21, v20
.LBB0_15:
	s_andn2_saveexec_b64 s[0:1], s[0:1]
	s_cbranch_execz .LBB0_17
; %bb.16:
	ds_read_u16 v20, v0 offset:450
	s_waitcnt lgkmcnt(1)
	v_alignbit_b32 v19, s0, v27, 16
	v_pk_add_f16 v19, v19, v27
	v_sub_f16_sdwa v10, v27, v27 dst_sel:DWORD dst_unused:UNUSED_PAD src0_sel:DWORD src1_sel:WORD_1
	v_pack_b32_f16 v19, v19, 0
	s_waitcnt lgkmcnt(0)
	v_xor_b32_e32 v20, 0x8000, v20
	ds_write_b16 v0, v20 offset:450
	v_mov_b32_e32 v20, 0
.LBB0_17:
	s_or_b64 exec, exec, s[0:1]
	global_load_dword v21, v[23:24], off offset:868
	global_load_dword v22, v[17:18], off offset:868
	;; [unrolled: 1-line block ×3, first 2 shown]
	ds_write_b16 v4, v20 offset:898
	ds_write_b32 v25, v19
	ds_write_b16 v4, v10 offset:896
	v_lshl_add_u32 v7, v7, 2, v0
	ds_read_b32 v10, v7
	ds_read_b32 v15, v4 offset:832
	global_load_dword v16, v[8:9], off offset:868
	global_load_dword v17, v[11:12], off offset:868
	;; [unrolled: 1-line block ×3, first 2 shown]
	s_mov_b32 s0, 0xffff
	s_waitcnt lgkmcnt(0)
	v_pk_add_f16 v8, v10, v15 neg_lo:[0,1] neg_hi:[0,1]
	v_pk_add_f16 v9, v10, v15
	v_bfi_b32 v10, s0, v8, v9
	v_bfi_b32 v8, s0, v9, v8
	v_pk_mul_f16 v9, v10, 0.5 op_sel_hi:[1,0]
	v_pk_mul_f16 v8, v8, 0.5 op_sel_hi:[1,0]
	s_waitcnt vmcnt(5)
	v_pk_fma_f16 v10, v21, v9, v8 op_sel:[1,0,0]
	v_pk_mul_f16 v11, v21, v9 op_sel_hi:[0,1]
	v_pk_fma_f16 v12, v21, v9, v8 op_sel:[1,0,0] neg_lo:[1,0,0] neg_hi:[1,0,0]
	v_pk_fma_f16 v8, v21, v9, v8 op_sel:[1,0,0] neg_lo:[0,0,1] neg_hi:[0,0,1]
	v_pk_add_f16 v9, v10, v11 op_sel:[0,1] op_sel_hi:[1,0]
	v_pk_add_f16 v10, v10, v11 op_sel:[0,1] op_sel_hi:[1,0] neg_lo:[0,1] neg_hi:[0,1]
	v_pk_add_f16 v12, v12, v11 op_sel:[0,1] op_sel_hi:[1,0] neg_lo:[0,1] neg_hi:[0,1]
	v_pk_add_f16 v8, v8, v11 op_sel:[0,1] op_sel_hi:[1,0] neg_lo:[0,1] neg_hi:[0,1]
	v_bfi_b32 v9, s0, v9, v10
	v_bfi_b32 v8, s0, v12, v8
	ds_write_b32 v7, v9
	ds_write_b32 v4, v8 offset:832
	ds_read_b32 v7, v33
	ds_read_b32 v8, v4 offset:768
	s_waitcnt lgkmcnt(0)
	v_pk_add_f16 v9, v7, v8 neg_lo:[0,1] neg_hi:[0,1]
	v_pk_add_f16 v7, v7, v8
	v_bfi_b32 v8, s0, v9, v7
	v_bfi_b32 v7, s0, v7, v9
	v_pk_mul_f16 v8, v8, 0.5 op_sel_hi:[1,0]
	v_pk_mul_f16 v7, v7, 0.5 op_sel_hi:[1,0]
	s_waitcnt vmcnt(4)
	v_pk_fma_f16 v9, v22, v8, v7 op_sel:[1,0,0]
	v_pk_mul_f16 v10, v22, v8 op_sel_hi:[0,1]
	v_pk_fma_f16 v11, v22, v8, v7 op_sel:[1,0,0] neg_lo:[1,0,0] neg_hi:[1,0,0]
	v_pk_fma_f16 v7, v22, v8, v7 op_sel:[1,0,0] neg_lo:[0,0,1] neg_hi:[0,0,1]
	v_pk_add_f16 v8, v9, v10 op_sel:[0,1] op_sel_hi:[1,0]
	v_pk_add_f16 v9, v9, v10 op_sel:[0,1] op_sel_hi:[1,0] neg_lo:[0,1] neg_hi:[0,1]
	v_pk_add_f16 v11, v11, v10 op_sel:[0,1] op_sel_hi:[1,0] neg_lo:[0,1] neg_hi:[0,1]
	v_pk_add_f16 v7, v7, v10 op_sel:[0,1] op_sel_hi:[1,0] neg_lo:[0,1] neg_hi:[0,1]
	v_bfi_b32 v8, s0, v8, v9
	v_bfi_b32 v7, s0, v11, v7
	ds_write_b32 v33, v8
	ds_write_b32 v4, v7 offset:768
	ds_read_b32 v7, v32
	ds_read_b32 v8, v4 offset:704
	;; [unrolled: 22-line block ×3, first 2 shown]
	s_waitcnt lgkmcnt(0)
	v_pk_add_f16 v9, v7, v8 neg_lo:[0,1] neg_hi:[0,1]
	v_pk_add_f16 v7, v7, v8
	v_bfi_b32 v8, s0, v9, v7
	v_bfi_b32 v7, s0, v7, v9
	v_pk_mul_f16 v8, v8, 0.5 op_sel_hi:[1,0]
	v_pk_mul_f16 v9, v7, 0.5 op_sel_hi:[1,0]
	s_waitcnt vmcnt(2)
	v_pk_mul_f16 v10, v16, v8 op_sel:[1,0]
	v_pk_mul_f16 v8, v16, v8 op_sel_hi:[0,1]
	v_pk_fma_f16 v7, v7, 0.5, v10 op_sel_hi:[1,0,1]
	v_sub_f16_e32 v11, v9, v10
	v_sub_f16_sdwa v9, v10, v9 dst_sel:DWORD dst_unused:UNUSED_PAD src0_sel:WORD_1 src1_sel:WORD_1
	v_pk_add_f16 v10, v7, v8 op_sel:[0,1] op_sel_hi:[1,0]
	v_pk_add_f16 v7, v7, v8 op_sel:[0,1] op_sel_hi:[1,0] neg_lo:[0,1] neg_hi:[0,1]
	v_sub_f16_sdwa v11, v11, v8 dst_sel:DWORD dst_unused:UNUSED_PAD src0_sel:DWORD src1_sel:WORD_1
	v_sub_f16_e32 v8, v9, v8
	v_bfi_b32 v7, s0, v10, v7
	ds_write_b16 v4, v8 offset:642
	ds_write_b32 v31, v7
	ds_write_b16 v4, v11 offset:640
	ds_read_b32 v7, v30
	ds_read_b32 v8, v4 offset:576
	s_waitcnt lgkmcnt(0)
	v_pk_add_f16 v9, v7, v8 neg_lo:[0,1] neg_hi:[0,1]
	v_pk_add_f16 v7, v7, v8
	v_bfi_b32 v8, s0, v9, v7
	v_bfi_b32 v7, s0, v7, v9
	v_pk_mul_f16 v8, v8, 0.5 op_sel_hi:[1,0]
	v_pk_mul_f16 v9, v7, 0.5 op_sel_hi:[1,0]
	s_waitcnt vmcnt(1)
	v_pk_mul_f16 v10, v17, v8 op_sel:[1,0]
	v_pk_mul_f16 v8, v17, v8 op_sel_hi:[0,1]
	v_pk_fma_f16 v7, v7, 0.5, v10 op_sel_hi:[1,0,1]
	v_sub_f16_e32 v11, v9, v10
	v_sub_f16_sdwa v9, v10, v9 dst_sel:DWORD dst_unused:UNUSED_PAD src0_sel:WORD_1 src1_sel:WORD_1
	v_pk_add_f16 v10, v7, v8 op_sel:[0,1] op_sel_hi:[1,0]
	v_pk_add_f16 v7, v7, v8 op_sel:[0,1] op_sel_hi:[1,0] neg_lo:[0,1] neg_hi:[0,1]
	v_sub_f16_sdwa v11, v11, v8 dst_sel:DWORD dst_unused:UNUSED_PAD src0_sel:DWORD src1_sel:WORD_1
	v_sub_f16_e32 v8, v9, v8
	v_bfi_b32 v7, s0, v10, v7
	ds_write_b16 v4, v8 offset:578
	ds_write_b32 v30, v7
	ds_write_b16 v4, v11 offset:576
	ds_read_b32 v7, v29
	ds_read_b32 v8, v4 offset:512
	s_waitcnt lgkmcnt(0)
	v_pk_add_f16 v9, v7, v8 neg_lo:[0,1] neg_hi:[0,1]
	v_pk_add_f16 v7, v7, v8
	v_bfi_b32 v8, s0, v9, v7
	v_bfi_b32 v7, s0, v7, v9
	v_pk_mul_f16 v8, v8, 0.5 op_sel_hi:[1,0]
	v_pk_mul_f16 v7, v7, 0.5 op_sel_hi:[1,0]
	s_waitcnt vmcnt(0)
	v_pk_fma_f16 v9, v18, v8, v7 op_sel:[1,0,0]
	v_pk_mul_f16 v10, v18, v8 op_sel_hi:[0,1]
	v_pk_fma_f16 v11, v18, v8, v7 op_sel:[1,0,0] neg_lo:[1,0,0] neg_hi:[1,0,0]
	v_pk_fma_f16 v7, v18, v8, v7 op_sel:[1,0,0] neg_lo:[0,0,1] neg_hi:[0,0,1]
	v_pk_add_f16 v8, v9, v10 op_sel:[0,1] op_sel_hi:[1,0]
	v_pk_add_f16 v9, v9, v10 op_sel:[0,1] op_sel_hi:[1,0] neg_lo:[0,1] neg_hi:[0,1]
	v_pk_add_f16 v11, v11, v10 op_sel:[0,1] op_sel_hi:[1,0] neg_lo:[0,1] neg_hi:[0,1]
	;; [unrolled: 1-line block ×3, first 2 shown]
	v_bfi_b32 v8, s0, v8, v9
	v_bfi_b32 v7, s0, v11, v7
	ds_write_b32 v29, v8
	ds_write_b32 v4, v7 offset:512
	s_waitcnt lgkmcnt(0)
	; wave barrier
	s_waitcnt lgkmcnt(0)
	s_and_saveexec_b64 s[0:1], vcc
	s_cbranch_execz .LBB0_20
; %bb.18:
	v_mul_lo_u32 v4, s3, v5
	v_mul_lo_u32 v8, s2, v6
	v_mad_u64_u32 v[6:7], s[0:1], s2, v5, 0
	v_lshl_add_u32 v5, v3, 2, v0
	v_mov_b32_e32 v0, s11
	v_add3_u32 v7, v7, v8, v4
	v_lshlrev_b64 v[6:7], 2, v[6:7]
	v_mov_b32_e32 v4, 0
	v_add_co_u32_e32 v6, vcc, s10, v6
	v_addc_co_u32_e32 v7, vcc, v0, v7, vcc
	v_lshlrev_b64 v[0:1], 2, v[1:2]
	ds_read2_b32 v[8:9], v5 offset1:16
	v_add_co_u32_e32 v0, vcc, v6, v0
	v_addc_co_u32_e32 v1, vcc, v7, v1, vcc
	v_lshlrev_b64 v[6:7], 2, v[3:4]
	v_add_co_u32_e32 v6, vcc, v0, v6
	v_addc_co_u32_e32 v7, vcc, v1, v7, vcc
	s_waitcnt lgkmcnt(0)
	global_store_dword v[6:7], v8, off
	v_add_u32_e32 v6, 16, v3
	v_mov_b32_e32 v7, v4
	v_lshlrev_b64 v[6:7], 2, v[6:7]
	v_add_co_u32_e32 v6, vcc, v0, v6
	v_addc_co_u32_e32 v7, vcc, v1, v7, vcc
	global_store_dword v[6:7], v9, off
	v_add_u32_e32 v6, 32, v3
	v_mov_b32_e32 v7, v4
	ds_read2_b32 v[8:9], v5 offset0:32 offset1:48
	v_lshlrev_b64 v[6:7], 2, v[6:7]
	v_add_co_u32_e32 v6, vcc, v0, v6
	v_addc_co_u32_e32 v7, vcc, v1, v7, vcc
	s_waitcnt lgkmcnt(0)
	global_store_dword v[6:7], v8, off
	v_add_u32_e32 v6, 48, v3
	v_mov_b32_e32 v7, v4
	v_lshlrev_b64 v[6:7], 2, v[6:7]
	v_add_co_u32_e32 v6, vcc, v0, v6
	v_addc_co_u32_e32 v7, vcc, v1, v7, vcc
	global_store_dword v[6:7], v9, off
	v_add_u32_e32 v6, 64, v3
	v_mov_b32_e32 v7, v4
	ds_read2_b32 v[8:9], v5 offset0:64 offset1:80
	;; [unrolled: 14-line block ×6, first 2 shown]
	v_lshlrev_b64 v[6:7], 2, v[6:7]
	v_add_co_u32_e32 v6, vcc, v0, v6
	v_addc_co_u32_e32 v7, vcc, v1, v7, vcc
	s_waitcnt lgkmcnt(0)
	global_store_dword v[6:7], v8, off
	v_add_u32_e32 v6, 0xd0, v3
	v_mov_b32_e32 v7, v4
	v_lshlrev_b64 v[6:7], 2, v[6:7]
	v_add_co_u32_e32 v6, vcc, v0, v6
	v_addc_co_u32_e32 v7, vcc, v1, v7, vcc
	v_cmp_eq_u32_e32 vcc, 15, v3
	global_store_dword v[6:7], v9, off
	s_and_b64 exec, exec, vcc
	s_cbranch_execz .LBB0_20
; %bb.19:
	ds_read_b32 v2, v5 offset:836
	s_waitcnt lgkmcnt(0)
	global_store_dword v[0:1], v2, off offset:896
.LBB0_20:
	s_endpgm
	.section	.rodata,"a",@progbits
	.p2align	6, 0x0
	.amdhsa_kernel fft_rtc_fwd_len224_factors_7_2_2_2_2_2_wgs_64_tpt_16_halfLds_half_op_CI_CI_unitstride_sbrr_R2C_dirReg
		.amdhsa_group_segment_fixed_size 0
		.amdhsa_private_segment_fixed_size 0
		.amdhsa_kernarg_size 104
		.amdhsa_user_sgpr_count 6
		.amdhsa_user_sgpr_private_segment_buffer 1
		.amdhsa_user_sgpr_dispatch_ptr 0
		.amdhsa_user_sgpr_queue_ptr 0
		.amdhsa_user_sgpr_kernarg_segment_ptr 1
		.amdhsa_user_sgpr_dispatch_id 0
		.amdhsa_user_sgpr_flat_scratch_init 0
		.amdhsa_user_sgpr_private_segment_size 0
		.amdhsa_uses_dynamic_stack 0
		.amdhsa_system_sgpr_private_segment_wavefront_offset 0
		.amdhsa_system_sgpr_workgroup_id_x 1
		.amdhsa_system_sgpr_workgroup_id_y 0
		.amdhsa_system_sgpr_workgroup_id_z 0
		.amdhsa_system_sgpr_workgroup_info 0
		.amdhsa_system_vgpr_workitem_id 0
		.amdhsa_next_free_vgpr 63
		.amdhsa_next_free_sgpr 28
		.amdhsa_reserve_vcc 1
		.amdhsa_reserve_flat_scratch 0
		.amdhsa_float_round_mode_32 0
		.amdhsa_float_round_mode_16_64 0
		.amdhsa_float_denorm_mode_32 3
		.amdhsa_float_denorm_mode_16_64 3
		.amdhsa_dx10_clamp 1
		.amdhsa_ieee_mode 1
		.amdhsa_fp16_overflow 0
		.amdhsa_exception_fp_ieee_invalid_op 0
		.amdhsa_exception_fp_denorm_src 0
		.amdhsa_exception_fp_ieee_div_zero 0
		.amdhsa_exception_fp_ieee_overflow 0
		.amdhsa_exception_fp_ieee_underflow 0
		.amdhsa_exception_fp_ieee_inexact 0
		.amdhsa_exception_int_div_zero 0
	.end_amdhsa_kernel
	.text
.Lfunc_end0:
	.size	fft_rtc_fwd_len224_factors_7_2_2_2_2_2_wgs_64_tpt_16_halfLds_half_op_CI_CI_unitstride_sbrr_R2C_dirReg, .Lfunc_end0-fft_rtc_fwd_len224_factors_7_2_2_2_2_2_wgs_64_tpt_16_halfLds_half_op_CI_CI_unitstride_sbrr_R2C_dirReg
                                        ; -- End function
	.section	.AMDGPU.csdata,"",@progbits
; Kernel info:
; codeLenInByte = 9012
; NumSgprs: 32
; NumVgprs: 63
; ScratchSize: 0
; MemoryBound: 0
; FloatMode: 240
; IeeeMode: 1
; LDSByteSize: 0 bytes/workgroup (compile time only)
; SGPRBlocks: 3
; VGPRBlocks: 15
; NumSGPRsForWavesPerEU: 32
; NumVGPRsForWavesPerEU: 63
; Occupancy: 4
; WaveLimiterHint : 1
; COMPUTE_PGM_RSRC2:SCRATCH_EN: 0
; COMPUTE_PGM_RSRC2:USER_SGPR: 6
; COMPUTE_PGM_RSRC2:TRAP_HANDLER: 0
; COMPUTE_PGM_RSRC2:TGID_X_EN: 1
; COMPUTE_PGM_RSRC2:TGID_Y_EN: 0
; COMPUTE_PGM_RSRC2:TGID_Z_EN: 0
; COMPUTE_PGM_RSRC2:TIDIG_COMP_CNT: 0
	.type	__hip_cuid_c8f646a0e5b3b530,@object ; @__hip_cuid_c8f646a0e5b3b530
	.section	.bss,"aw",@nobits
	.globl	__hip_cuid_c8f646a0e5b3b530
__hip_cuid_c8f646a0e5b3b530:
	.byte	0                               ; 0x0
	.size	__hip_cuid_c8f646a0e5b3b530, 1

	.ident	"AMD clang version 19.0.0git (https://github.com/RadeonOpenCompute/llvm-project roc-6.4.0 25133 c7fe45cf4b819c5991fe208aaa96edf142730f1d)"
	.section	".note.GNU-stack","",@progbits
	.addrsig
	.addrsig_sym __hip_cuid_c8f646a0e5b3b530
	.amdgpu_metadata
---
amdhsa.kernels:
  - .args:
      - .actual_access:  read_only
        .address_space:  global
        .offset:         0
        .size:           8
        .value_kind:     global_buffer
      - .offset:         8
        .size:           8
        .value_kind:     by_value
      - .actual_access:  read_only
        .address_space:  global
        .offset:         16
        .size:           8
        .value_kind:     global_buffer
      - .actual_access:  read_only
        .address_space:  global
        .offset:         24
        .size:           8
        .value_kind:     global_buffer
      - .actual_access:  read_only
        .address_space:  global
        .offset:         32
        .size:           8
        .value_kind:     global_buffer
      - .offset:         40
        .size:           8
        .value_kind:     by_value
      - .actual_access:  read_only
        .address_space:  global
        .offset:         48
        .size:           8
        .value_kind:     global_buffer
      - .actual_access:  read_only
        .address_space:  global
        .offset:         56
        .size:           8
        .value_kind:     global_buffer
      - .offset:         64
        .size:           4
        .value_kind:     by_value
      - .actual_access:  read_only
        .address_space:  global
        .offset:         72
        .size:           8
        .value_kind:     global_buffer
      - .actual_access:  read_only
        .address_space:  global
        .offset:         80
        .size:           8
        .value_kind:     global_buffer
      - .actual_access:  read_only
        .address_space:  global
        .offset:         88
        .size:           8
        .value_kind:     global_buffer
      - .actual_access:  write_only
        .address_space:  global
        .offset:         96
        .size:           8
        .value_kind:     global_buffer
    .group_segment_fixed_size: 0
    .kernarg_segment_align: 8
    .kernarg_segment_size: 104
    .language:       OpenCL C
    .language_version:
      - 2
      - 0
    .max_flat_workgroup_size: 64
    .name:           fft_rtc_fwd_len224_factors_7_2_2_2_2_2_wgs_64_tpt_16_halfLds_half_op_CI_CI_unitstride_sbrr_R2C_dirReg
    .private_segment_fixed_size: 0
    .sgpr_count:     32
    .sgpr_spill_count: 0
    .symbol:         fft_rtc_fwd_len224_factors_7_2_2_2_2_2_wgs_64_tpt_16_halfLds_half_op_CI_CI_unitstride_sbrr_R2C_dirReg.kd
    .uniform_work_group_size: 1
    .uses_dynamic_stack: false
    .vgpr_count:     63
    .vgpr_spill_count: 0
    .wavefront_size: 64
amdhsa.target:   amdgcn-amd-amdhsa--gfx906
amdhsa.version:
  - 1
  - 2
...

	.end_amdgpu_metadata
